;; amdgpu-corpus repo=zjin-lcf/HeCBench kind=compiled arch=gfx1250 opt=O3
	.amdgcn_target "amdgcn-amd-amdhsa--gfx1250"
	.amdhsa_code_object_version 6
	.text
	.protected	_Z9BezierGPUPK3XYZPS_iiii ; -- Begin function _Z9BezierGPUPK3XYZPS_iiii
	.globl	_Z9BezierGPUPK3XYZPS_iiii
	.p2align	8
	.type	_Z9BezierGPUPK3XYZPS_iiii,@function
_Z9BezierGPUPK3XYZPS_iiii:              ; @_Z9BezierGPUPK3XYZPS_iiii
; %bb.0:
	s_clause 0x1
	s_load_b32 s2, s[0:1], 0x2c
	s_load_b128 s[4:7], s[0:1], 0x10
	s_bfe_u32 s3, ttmp6, 0x4000c
	s_and_b32 s8, ttmp6, 15
	s_add_co_i32 s3, s3, 1
	s_getreg_b32 s9, hwreg(HW_REG_IB_STS2, 6, 4)
	s_mul_i32 s3, ttmp9, s3
	s_delay_alu instid0(SALU_CYCLE_1) | instskip(SKIP_4) | instid1(SALU_CYCLE_1)
	s_add_co_i32 s8, s8, s3
	s_wait_kmcnt 0x0
	s_and_b32 s2, s2, 0xffff
	s_cmp_eq_u32 s9, 0
	s_cselect_b32 s3, ttmp9, s8
	v_mad_u32 v0, s3, s2, v0
	s_mov_b32 s2, exec_lo
	s_delay_alu instid0(VALU_DEP_1)
	v_cmpx_ge_i32_e64 s6, v0
	s_cbranch_execz .LBB0_33
; %bb.1:
	s_cmp_lt_i32 s7, 1
	s_cbranch_scc1 .LBB0_33
; %bb.2:
	s_add_co_i32 s2, s6, -1
	v_cvt_f32_i32_e32 v1, v0
	s_cvt_f32_i32 s2, s2
	s_load_b128 s[8:11], s[0:1], 0x0
	s_wait_xcnt 0x0
	s_add_co_i32 s0, s7, -1
	s_cmp_gt_i32 s4, -1
	v_div_scale_f32 v2, null, s2, s2, v1
	v_div_scale_f32 v5, vcc_lo, v1, s2, v1
	s_cselect_b32 s12, -1, 0
	v_rcp_f32_e32 v3, v2
	s_cmp_gt_i32 s4, 0
	s_cvt_f32_u32 s14, s0
	s_cselect_b32 s13, -1, 0
	s_cmp_gt_i32 s5, -1
	s_mov_b32 s6, 0
	s_cselect_b32 s15, -1, 0
	v_nop
	v_fma_f32 v4, -v2, v3, 1.0
	s_cmp_gt_i32 s5, 0
	s_mov_b32 s18, 0x3e76c4e1
	s_cselect_b32 s16, -1, 0
	s_add_co_i32 s17, s5, 1
	v_fmac_f32_e32 v3, v4, v3
	s_mov_b32 s19, 0x3e91f4c4
	s_delay_alu instid0(VALU_DEP_1) | instskip(NEXT) | instid1(VALU_DEP_1)
	v_mul_f32_e32 v4, v5, v3
	v_fma_f32 v6, -v2, v4, v5
	s_delay_alu instid0(VALU_DEP_1) | instskip(NEXT) | instid1(VALU_DEP_1)
	v_fmac_f32_e32 v4, v6, v3
	v_fma_f32 v2, -v2, v4, v5
	s_delay_alu instid0(VALU_DEP_1) | instskip(SKIP_1) | instid1(VALU_DEP_2)
	v_div_fmas_f32 v2, v2, v3, v4
	v_mul_lo_u32 v3, v0, s7
	v_div_fixup_f32 v7, v2, s2, v1
	s_delay_alu instid0(VALU_DEP_1) | instskip(SKIP_1) | instid1(VALU_DEP_2)
	v_sub_f32_e32 v8, 1.0, v7
	v_cmp_eq_f32_e64 s0, 1.0, v7
	v_cmp_eq_f32_e64 s1, 1.0, v8
	s_branch .LBB0_5
.LBB0_3:                                ;   in Loop: Header=BB0_5 Depth=1
	s_wait_xcnt 0x0
	v_mov_b64_e32 v[0:1], 0
	v_mov_b32_e32 v2, 0
.LBB0_4:                                ;   in Loop: Header=BB0_5 Depth=1
	v_add_nc_u32_e32 v4, s6, v3
	s_add_co_i32 s6, s6, 1
	s_delay_alu instid0(SALU_CYCLE_1)
	s_cmp_lg_u32 s6, s7
	s_wait_kmcnt 0x0
	global_store_b96 v4, v[0:2], s[10:11] scale_offset
	s_cbranch_scc0 .LBB0_33
.LBB0_5:                                ; =>This Loop Header: Depth=1
                                        ;     Child Loop BB0_13 Depth 2
                                        ;       Child Loop BB0_25 Depth 3
	s_and_not1_b32 vcc_lo, exec_lo, s12
	s_cbranch_vccnz .LBB0_3
; %bb.6:                                ;   in Loop: Header=BB0_5 Depth=1
	s_cvt_f32_u32 s2, s6
	s_mov_b32 s23, 0
	s_wait_xcnt 0x0
	s_delay_alu instid0(SALU_CYCLE_1) | instskip(SKIP_1) | instid1(VALU_DEP_2)
	v_div_scale_f32 v0, null, s14, s14, s2
	v_div_scale_f32 v4, vcc_lo, s2, s14, s2
	v_rcp_f32_e32 v1, v0
	v_nop
	v_xor_b32_e32 v0, 0x80000000, v0
	s_delay_alu instid0(TRANS32_DEP_1) | instid1(VALU_DEP_1)
	v_fma_f32 v2, v0, v1, 1.0
	s_delay_alu instid0(VALU_DEP_1) | instskip(NEXT) | instid1(VALU_DEP_1)
	v_fmac_f32_e32 v1, v2, v1
	v_mul_f32_e32 v2, v4, v1
	s_delay_alu instid0(VALU_DEP_1) | instskip(NEXT) | instid1(VALU_DEP_1)
	v_fma_f32 v5, v0, v2, v4
	v_fmac_f32_e32 v2, v5, v1
	s_delay_alu instid0(VALU_DEP_1) | instskip(NEXT) | instid1(VALU_DEP_1)
	v_fmac_f32_e32 v4, v0, v2
	v_div_fmas_f32 v0, v4, v1, v2
	v_mov_b32_e32 v2, 0
	s_delay_alu instid0(VALU_DEP_2) | instskip(SKIP_1) | instid1(VALU_DEP_2)
	v_div_fixup_f32 v9, v0, s14, s2
	v_mov_b64_e32 v[0:1], 0
	v_readfirstlane_b32 s2, v9
	s_cmp_eq_f32 s2, 1.0
	s_sub_f32 s20, 1.0, s2
	s_cselect_b32 s21, -1, 0
	s_delay_alu instid0(SALU_CYCLE_2)
	s_cmp_eq_f32 s20, 1.0
	s_cselect_b32 s22, -1, 0
	v_mov_b32_e32 v4, 1.0
	s_and_not1_b32 vcc_lo, exec_lo, s13
	s_sub_co_i32 s24, s4, s23
	s_cbranch_vccnz .LBB0_13
.LBB0_7:                                ;   in Loop: Header=BB0_5 Depth=1
	s_mov_b32 s2, s24
	s_mov_b32 s3, s23
	;; [unrolled: 1-line block ×3, first 2 shown]
	s_delay_alu instid0(SALU_CYCLE_1) | instskip(SKIP_1) | instid1(SALU_CYCLE_2)
	s_cvt_f32_u32 s26, s25
	s_cmp_lt_i32 s3, 2
	v_mul_f32_e32 v4, s26, v4
	s_cbranch_scc0 .LBB0_10
.LBB0_8:                                ;   in Loop: Header=BB0_5 Depth=1
	s_cmp_lt_i32 s2, 2
	s_cbranch_scc0 .LBB0_11
.LBB0_9:                                ;   in Loop: Header=BB0_5 Depth=1
	s_add_co_i32 s26, s25, -1
	s_cmp_gt_u32 s25, 1
	s_cbranch_scc1 .LBB0_12
	s_branch .LBB0_13
.LBB0_10:                               ;   in Loop: Header=BB0_5 Depth=1
	s_cvt_f32_u32 s26, s3
	s_add_co_i32 s3, s3, -1
	s_delay_alu instid0(VALU_DEP_1) | instid1(SALU_CYCLE_2)
	v_div_scale_f32 v5, null, s26, s26, v4
	s_delay_alu instid0(VALU_DEP_1)
	v_rcp_f32_e32 v6, v5
	v_nop
	v_xor_b32_e32 v5, 0x80000000, v5
	s_delay_alu instid0(TRANS32_DEP_1) | instid1(VALU_DEP_1)
	v_fma_f32 v10, v5, v6, 1.0
	s_delay_alu instid0(VALU_DEP_1) | instskip(SKIP_1) | instid1(VALU_DEP_1)
	v_fmac_f32_e32 v6, v10, v6
	v_div_scale_f32 v10, vcc_lo, v4, s26, v4
	v_mul_f32_e32 v11, v10, v6
	s_delay_alu instid0(VALU_DEP_1) | instskip(NEXT) | instid1(VALU_DEP_1)
	v_fma_f32 v12, v5, v11, v10
	v_fmac_f32_e32 v11, v12, v6
	s_delay_alu instid0(VALU_DEP_1) | instskip(NEXT) | instid1(VALU_DEP_1)
	v_fmac_f32_e32 v10, v5, v11
	v_div_fmas_f32 v5, v10, v6, v11
	s_delay_alu instid0(VALU_DEP_1)
	v_div_fixup_f32 v4, v5, s26, v4
	s_cmp_lt_i32 s2, 2
	s_cbranch_scc1 .LBB0_9
.LBB0_11:                               ;   in Loop: Header=BB0_5 Depth=1
	s_cvt_f32_u32 s26, s2
	s_add_co_i32 s2, s2, -1
	s_delay_alu instid0(SALU_CYCLE_2) | instskip(NEXT) | instid1(VALU_DEP_1)
	v_div_scale_f32 v5, null, s26, s26, v4
	v_rcp_f32_e32 v6, v5
	v_nop
	v_xor_b32_e32 v5, 0x80000000, v5
	s_delay_alu instid0(TRANS32_DEP_1) | instid1(VALU_DEP_1)
	v_fma_f32 v10, v5, v6, 1.0
	s_delay_alu instid0(VALU_DEP_1) | instskip(SKIP_1) | instid1(VALU_DEP_1)
	v_fmac_f32_e32 v6, v10, v6
	v_div_scale_f32 v10, vcc_lo, v4, s26, v4
	v_mul_f32_e32 v11, v10, v6
	s_delay_alu instid0(VALU_DEP_1) | instskip(NEXT) | instid1(VALU_DEP_1)
	v_fma_f32 v12, v5, v11, v10
	v_fmac_f32_e32 v11, v12, v6
	s_delay_alu instid0(VALU_DEP_1) | instskip(NEXT) | instid1(VALU_DEP_1)
	v_fmac_f32_e32 v10, v5, v11
	v_div_fmas_f32 v5, v10, v6, v11
	s_delay_alu instid0(VALU_DEP_1)
	v_div_fixup_f32 v4, v5, s26, v4
	s_add_co_i32 s26, s25, -1
	s_cmp_gt_u32 s25, 1
	s_cbranch_scc0 .LBB0_13
.LBB0_12:                               ;   in Loop: Header=BB0_5 Depth=1
	s_mov_b32 s25, s26
	s_delay_alu instid0(SALU_CYCLE_1) | instskip(SKIP_1) | instid1(SALU_CYCLE_2)
	s_cvt_f32_u32 s26, s25
	s_cmp_lt_i32 s3, 2
	v_mul_f32_e32 v4, s26, v4
	s_cbranch_scc0 .LBB0_10
	s_branch .LBB0_8
.LBB0_13:                               ;   Parent Loop BB0_5 Depth=1
                                        ; =>  This Loop Header: Depth=2
                                        ;       Child Loop BB0_25 Depth 3
	s_cmp_eq_u32 s23, 0
	s_cbranch_scc1 .LBB0_15
; %bb.14:                               ;   in Loop: Header=BB0_13 Depth=2
	s_cvt_f32_u32 s2, s23
	s_delay_alu instid0(SALU_CYCLE_3) | instskip(NEXT) | instid1(VALU_DEP_1)
	v_cndmask_b32_e64 v26, s2, 1.0, s0
	v_cmp_neq_f32_e32 vcc_lo, 0, v26
	v_cndmask_b32_e32 v5, 1.0, v7, vcc_lo
	s_delay_alu instid0(VALU_DEP_1) | instskip(NEXT) | instid1(VALU_DEP_1)
	v_frexp_mant_f32_e64 v6, |v5|
	v_cmp_gt_f32_e32 vcc_lo, 0x3f2aaaab, v6
	v_cndmask_b32_e64 v10, 1.0, 2.0, vcc_lo
	s_delay_alu instid0(VALU_DEP_1) | instskip(NEXT) | instid1(VALU_DEP_1)
	v_mul_f32_e32 v6, v6, v10
	v_dual_add_f32 v10, 1.0, v6 :: v_dual_add_f32 v11, -1.0, v6
	s_delay_alu instid0(VALU_DEP_1) | instskip(SKIP_1) | instid1(TRANS32_DEP_1)
	v_rcp_f32_e32 v16, v10
	v_nop
	v_dual_add_f32 v13, -1.0, v10 :: v_dual_mul_f32 v17, v11, v16
	s_delay_alu instid0(VALU_DEP_1) | instskip(NEXT) | instid1(VALU_DEP_2)
	v_sub_f32_e32 v6, v6, v13
	v_mul_f32_e32 v12, v10, v17
	s_delay_alu instid0(VALU_DEP_1) | instskip(NEXT) | instid1(VALU_DEP_1)
	v_fma_f32 v14, v17, v10, -v12
	v_fmac_f32_e32 v14, v17, v6
	s_delay_alu instid0(VALU_DEP_1) | instskip(NEXT) | instid1(VALU_DEP_1)
	v_add_f32_e32 v10, v12, v14
	v_dual_sub_f32 v13, v11, v10 :: v_dual_mov_b32 v15, v10
	s_delay_alu instid0(VALU_DEP_1) | instskip(NEXT) | instid1(VALU_DEP_1)
	v_pk_add_f32 v[10:11], v[10:11], v[12:13] neg_lo:[0,1] neg_hi:[0,1]
	v_pk_add_f32 v[10:11], v[10:11], v[14:15] neg_lo:[0,1] neg_hi:[0,1]
	v_cvt_f64_f32_e64 v[14:15], |v5|
	s_delay_alu instid0(VALU_DEP_2) | instskip(NEXT) | instid1(VALU_DEP_1)
	v_add_f32_e32 v6, v10, v11
	v_add_f32_e32 v6, v13, v6
	s_delay_alu instid0(VALU_DEP_1) | instskip(NEXT) | instid1(VALU_DEP_1)
	v_mul_f32_e32 v6, v16, v6
	v_add_f32_e32 v10, v17, v6
	s_delay_alu instid0(VALU_DEP_1) | instskip(NEXT) | instid1(VALU_DEP_1)
	v_sub_f32_e32 v11, v10, v17
	v_sub_f32_e32 v22, v6, v11
	v_frexp_exp_i32_f64_e32 v20, v[14:15]
	s_delay_alu instid0(VALU_DEP_2) | instskip(SKIP_1) | instid1(VALU_DEP_1)
	v_add_f32_e32 v11, v22, v22
	v_mul_f32_e32 v13, v10, v10
	v_fma_f32 v6, v10, v10, -v13
	s_delay_alu instid0(VALU_DEP_1) | instskip(NEXT) | instid1(VALU_DEP_1)
	v_fmac_f32_e32 v6, v10, v11
	v_add_f32_e32 v12, v13, v6
	s_delay_alu instid0(VALU_DEP_1) | instskip(NEXT) | instid1(VALU_DEP_1)
	v_sub_f32_e32 v13, v12, v13
	v_dual_sub_f32 v6, v6, v13 :: v_dual_fmaak_f32 v11, s18, v12, 0x3e91f4c4
	s_delay_alu instid0(VALU_DEP_1) | instskip(NEXT) | instid1(VALU_DEP_1)
	v_fmaak_f32 v11, v12, v11, 0x3ecccdef
	v_mul_f32_e32 v16, v12, v11
	s_delay_alu instid0(VALU_DEP_1) | instskip(NEXT) | instid1(VALU_DEP_1)
	v_fma_f32 v13, v12, v11, -v16
	v_fmac_f32_e32 v13, v6, v11
	s_delay_alu instid0(VALU_DEP_1) | instskip(NEXT) | instid1(VALU_DEP_1)
	v_add_f32_e32 v18, v16, v13
	v_sub_f32_e32 v11, v18, v16
	v_add_f32_e32 v17, 0x3f2aaaaa, v18
	s_delay_alu instid0(VALU_DEP_2) | instskip(NEXT) | instid1(VALU_DEP_2)
	v_sub_f32_e32 v11, v13, v11
	v_add_f32_e32 v13, 0xbf2aaaaa, v17
	s_delay_alu instid0(VALU_DEP_1) | instskip(NEXT) | instid1(VALU_DEP_3)
	v_sub_f32_e32 v13, v18, v13
	v_add_f32_e32 v11, 0x31739010, v11
	s_delay_alu instid0(VALU_DEP_1) | instskip(SKIP_2) | instid1(VALU_DEP_2)
	v_pk_mul_f32 v[14:15], v[10:11], v[12:13]
	v_pk_add_f32 v[18:19], v[10:11], v[12:13]
	v_subrev_co_ci_u32_e64 v11, null, 0, v20, vcc_lo
	v_dual_fma_f32 v16, v12, v10, -v14 :: v_dual_mov_b32 v15, v19
	s_delay_alu instid0(VALU_DEP_1) | instskip(NEXT) | instid1(VALU_DEP_1)
	v_fmac_f32_e32 v16, v12, v22
	v_fmac_f32_e32 v16, v6, v10
	s_delay_alu instid0(VALU_DEP_1) | instskip(NEXT) | instid1(VALU_DEP_1)
	v_pk_add_f32 v[12:13], v[14:15], v[16:17]
	v_mov_b32_e32 v6, v13
	v_sub_f32_e32 v15, v17, v13
	s_delay_alu instid0(VALU_DEP_2) | instskip(SKIP_1) | instid1(VALU_DEP_3)
	v_pk_mul_f32 v[20:21], v[12:13], v[6:7]
	v_cvt_f32_i32_e32 v6, v11
	v_dual_sub_f32 v11, v12, v14 :: v_dual_add_f32 v15, v19, v15
	s_delay_alu instid0(VALU_DEP_3) | instskip(NEXT) | instid1(VALU_DEP_2)
	v_fma_f32 v14, v12, v13, -v20
	v_dual_mul_f32 v18, 0x3f317218, v6 :: v_dual_sub_f32 v11, v16, v11
	s_delay_alu instid0(VALU_DEP_2) | instskip(NEXT) | instid1(VALU_DEP_2)
	v_fmac_f32_e32 v14, v12, v15
	v_fma_f32 v12, 0x3f317218, v6, -v18
	s_delay_alu instid0(VALU_DEP_2) | instskip(SKIP_1) | instid1(VALU_DEP_2)
	v_fmac_f32_e32 v14, v11, v13
	v_ldexp_f32 v13, v10, 1
	v_add_f32_e32 v19, v20, v14
	s_delay_alu instid0(VALU_DEP_2) | instskip(SKIP_1) | instid1(VALU_DEP_3)
	v_dual_fmac_f32 v12, 0xb102e308, v6 :: v_dual_mov_b32 v21, v13
	v_ldexp_f32 v6, v22, 1
	v_mov_b32_e32 v15, v19
	s_delay_alu instid0(VALU_DEP_3) | instskip(NEXT) | instid1(VALU_DEP_1)
	v_pk_add_f32 v[10:11], v[18:19], v[12:13]
	v_dual_mov_b32 v16, v19 :: v_dual_mov_b32 v17, v11
	s_delay_alu instid0(VALU_DEP_2) | instskip(NEXT) | instid1(VALU_DEP_2)
	v_mov_b32_e32 v13, v10
	v_pk_add_f32 v[16:17], v[16:17], v[20:21] neg_lo:[0,1] neg_hi:[0,1]
	s_delay_alu instid0(VALU_DEP_1) | instskip(NEXT) | instid1(VALU_DEP_1)
	v_pk_add_f32 v[14:15], v[14:15], v[16:17] neg_lo:[0,1] neg_hi:[0,1]
	v_add_f32_e32 v6, v6, v14
	s_delay_alu instid0(VALU_DEP_1) | instskip(NEXT) | instid1(VALU_DEP_1)
	v_add_f32_e32 v19, v6, v15
	v_pk_add_f32 v[14:15], v[10:11], v[18:19]
	v_pk_add_f32 v[16:17], v[10:11], v[18:19] neg_lo:[0,1] neg_hi:[0,1]
	s_delay_alu instid0(VALU_DEP_2) | instskip(NEXT) | instid1(VALU_DEP_1)
	v_dual_mov_b32 v24, v11 :: v_dual_mov_b32 v17, v15
	v_pk_add_f32 v[20:21], v[12:13], v[16:17]
	s_delay_alu instid0(VALU_DEP_1) | instskip(SKIP_1) | instid1(VALU_DEP_2)
	v_dual_mov_b32 v20, v15 :: v_dual_mov_b32 v6, v21
	v_pk_add_f32 v[12:13], v[12:13], v[16:17] neg_lo:[0,1] neg_hi:[0,1]
	v_pk_add_f32 v[22:23], v[6:7], v[10:11] neg_lo:[0,1] neg_hi:[0,1]
	v_dual_mov_b32 v11, v10 :: v_dual_mov_b32 v10, v19
	s_delay_alu instid0(VALU_DEP_2) | instskip(NEXT) | instid1(VALU_DEP_1)
	v_dual_mov_b32 v19, v22 :: v_dual_mov_b32 v25, v22
	v_pk_add_f32 v[14:15], v[14:15], v[18:19] neg_lo:[0,1] neg_hi:[0,1]
	s_delay_alu instid0(VALU_DEP_2) | instskip(SKIP_1) | instid1(VALU_DEP_2)
	v_pk_add_f32 v[16:17], v[20:21], v[24:25] neg_lo:[0,1] neg_hi:[0,1]
	v_mov_b32_e32 v14, v12
	v_pk_add_f32 v[10:11], v[10:11], v[16:17] neg_lo:[0,1] neg_hi:[0,1]
	s_delay_alu instid0(VALU_DEP_1) | instskip(NEXT) | instid1(VALU_DEP_1)
	v_pk_add_f32 v[14:15], v[14:15], v[10:11]
	v_mov_b32_e32 v16, v15
	s_delay_alu instid0(VALU_DEP_1) | instskip(NEXT) | instid1(VALU_DEP_1)
	v_pk_add_f32 v[16:17], v[14:15], v[16:17]
	v_pk_add_f32 v[18:19], v[6:7], v[16:17]
	s_delay_alu instid0(VALU_DEP_1) | instskip(NEXT) | instid1(VALU_DEP_1)
	v_dual_mov_b32 v13, v21 :: v_dual_mov_b32 v15, v18
	v_pk_add_f32 v[20:21], v[14:15], v[12:13] neg_lo:[0,1] neg_hi:[0,1]
	s_delay_alu instid0(VALU_DEP_1) | instskip(NEXT) | instid1(VALU_DEP_1)
	v_dual_mov_b32 v11, v16 :: v_dual_sub_f32 v6, v14, v20
	v_pk_add_f32 v[10:11], v[10:11], v[20:21] neg_lo:[0,1] neg_hi:[0,1]
	s_delay_alu instid0(VALU_DEP_2) | instskip(NEXT) | instid1(VALU_DEP_1)
	v_sub_f32_e32 v6, v12, v6
	v_add_f32_e32 v6, v10, v6
	s_delay_alu instid0(VALU_DEP_1) | instskip(NEXT) | instid1(VALU_DEP_1)
	v_add_f32_e32 v6, v6, v11
	v_add_f32_e32 v10, v18, v6
	s_delay_alu instid0(VALU_DEP_1) | instskip(SKIP_1) | instid1(VALU_DEP_2)
	v_sub_f32_e32 v11, v10, v18
	v_mul_f32_e32 v12, v26, v10
	v_sub_f32_e32 v6, v6, v11
	s_delay_alu instid0(VALU_DEP_2) | instskip(SKIP_1) | instid1(VALU_DEP_2)
	v_fma_f32 v10, v26, v10, -v12
	v_cmp_class_f32_e64 vcc_lo, v12, 0x204
	v_fmac_f32_e32 v10, v26, v6
	s_delay_alu instid0(VALU_DEP_1) | instskip(NEXT) | instid1(VALU_DEP_1)
	v_add_f32_e32 v6, v12, v10
	v_dual_cndmask_b32 v11, v6, v12 :: v_dual_sub_f32 v6, v6, v12
	s_delay_alu instid0(VALU_DEP_1) | instskip(NEXT) | instid1(VALU_DEP_2)
	v_cmp_eq_f32_e32 vcc_lo, 0x42b17218, v11
	v_sub_f32_e32 v6, v10, v6
	v_cndmask_b32_e64 v13, 0, 0x37000000, vcc_lo
	s_delay_alu instid0(VALU_DEP_1) | instskip(NEXT) | instid1(VALU_DEP_1)
	v_sub_f32_e32 v14, v11, v13
	v_mul_f32_e32 v15, 0x3fb8aa3b, v14
	s_delay_alu instid0(VALU_DEP_1) | instskip(SKIP_1) | instid1(VALU_DEP_1)
	v_fma_f32 v16, 0x3fb8aa3b, v14, -v15
	v_rndne_f32_e32 v17, v15
	v_dual_fmac_f32 v16, 0x32a5705f, v14 :: v_dual_sub_f32 v15, v15, v17
	v_cmp_neq_f32_e64 vcc_lo, 0x7f800000, |v11|
	v_trunc_f32_e32 v11, v26
	s_delay_alu instid0(VALU_DEP_3) | instskip(SKIP_1) | instid1(VALU_DEP_2)
	v_dual_add_f32 v15, v15, v16 :: v_dual_cndmask_b32 v6, 0, v6
	v_cmp_ngt_f32_e32 vcc_lo, 0xc2ce8ed0, v14
	v_exp_f32_e32 v12, v15
	v_nop
	v_cvt_i32_f32_e32 v15, v17
	v_add_f32_e32 v6, v13, v6
	s_delay_alu instid0(TRANS32_DEP_1) | instid1(VALU_DEP_2)
	v_ldexp_f32 v10, v12, v15
	v_mul_f32_e32 v12, 0.5, v26
	s_delay_alu instid0(VALU_DEP_2) | instskip(SKIP_1) | instid1(VALU_DEP_3)
	v_cndmask_b32_e32 v10, 0, v10, vcc_lo
	v_cmp_nlt_f32_e32 vcc_lo, 0x42b17218, v14
	v_trunc_f32_e32 v15, v12
	s_delay_alu instid0(VALU_DEP_3) | instskip(SKIP_1) | instid1(VALU_DEP_3)
	v_cndmask_b32_e32 v10, 0x7f800000, v10, vcc_lo
	v_cmp_eq_f32_e32 vcc_lo, v11, v26
	v_cmp_neq_f32_e64 s2, v15, v12
	s_delay_alu instid0(VALU_DEP_3) | instskip(SKIP_2) | instid1(SALU_CYCLE_1)
	v_fma_f32 v6, v10, v6, v10
	v_cmp_class_f32_e64 s3, v10, 0x204
	s_and_b32 s2, vcc_lo, s2
	v_dual_cndmask_b32 v11, 1.0, v5, s2 :: v_dual_cndmask_b32 v12, 0, v5, s2
	v_cndmask_b32_e64 v6, v6, v10, s3
	v_cmp_eq_f32_e64 s3, 0, v5
	v_cmp_class_f32_e64 s2, v5, 0x204
	s_delay_alu instid0(VALU_DEP_3) | instskip(NEXT) | instid1(VALU_DEP_3)
	v_bfi_b32 v6, 0x7fffffff, v6, v11
	v_cndmask_b32_e64 v10, 0x7f800000, 0, s3
	s_delay_alu instid0(VALU_DEP_2) | instskip(SKIP_1) | instid1(VALU_DEP_3)
	v_cndmask_b32_e32 v11, 0x7fc00000, v6, vcc_lo
	v_cmp_gt_f32_e32 vcc_lo, 0, v5
	v_bfi_b32 v10, 0x7fffffff, v10, v12
	s_delay_alu instid0(VALU_DEP_3) | instskip(SKIP_1) | instid1(VALU_DEP_1)
	v_cndmask_b32_e32 v6, v6, v11, vcc_lo
	s_or_b32 vcc_lo, s3, s2
	v_cndmask_b32_e32 v6, v6, v10, vcc_lo
	v_cmp_o_f32_e32 vcc_lo, v5, v5
	s_delay_alu instid0(VALU_DEP_2) | instskip(NEXT) | instid1(VALU_DEP_1)
	v_cndmask_b32_e32 v5, 0x7fc00000, v6, vcc_lo
	v_mul_f32_e32 v4, v5, v4
.LBB0_15:                               ;   in Loop: Header=BB0_13 Depth=2
	s_cmp_lt_i32 s24, 1
	s_cbranch_scc1 .LBB0_17
; %bb.16:                               ;   in Loop: Header=BB0_13 Depth=2
	s_cvt_f32_u32 s2, s24
	s_delay_alu instid0(SALU_CYCLE_3) | instskip(NEXT) | instid1(VALU_DEP_1)
	v_cndmask_b32_e64 v26, s2, 1.0, s1
	v_cmp_neq_f32_e32 vcc_lo, 0, v26
	v_cndmask_b32_e32 v5, 1.0, v8, vcc_lo
	s_delay_alu instid0(VALU_DEP_1) | instskip(NEXT) | instid1(VALU_DEP_1)
	v_frexp_mant_f32_e64 v6, |v5|
	v_cmp_gt_f32_e32 vcc_lo, 0x3f2aaaab, v6
	v_cndmask_b32_e64 v10, 1.0, 2.0, vcc_lo
	s_delay_alu instid0(VALU_DEP_1) | instskip(NEXT) | instid1(VALU_DEP_1)
	v_mul_f32_e32 v6, v6, v10
	v_dual_add_f32 v10, 1.0, v6 :: v_dual_add_f32 v11, -1.0, v6
	s_delay_alu instid0(VALU_DEP_1) | instskip(SKIP_1) | instid1(TRANS32_DEP_1)
	v_rcp_f32_e32 v16, v10
	v_nop
	v_dual_add_f32 v13, -1.0, v10 :: v_dual_mul_f32 v17, v11, v16
	s_delay_alu instid0(VALU_DEP_1) | instskip(NEXT) | instid1(VALU_DEP_2)
	v_sub_f32_e32 v6, v6, v13
	v_mul_f32_e32 v12, v10, v17
	s_delay_alu instid0(VALU_DEP_1) | instskip(NEXT) | instid1(VALU_DEP_1)
	v_fma_f32 v14, v17, v10, -v12
	v_fmac_f32_e32 v14, v17, v6
	s_delay_alu instid0(VALU_DEP_1) | instskip(NEXT) | instid1(VALU_DEP_1)
	v_add_f32_e32 v10, v12, v14
	v_dual_sub_f32 v13, v11, v10 :: v_dual_mov_b32 v15, v10
	s_delay_alu instid0(VALU_DEP_1) | instskip(NEXT) | instid1(VALU_DEP_1)
	v_pk_add_f32 v[10:11], v[10:11], v[12:13] neg_lo:[0,1] neg_hi:[0,1]
	v_pk_add_f32 v[10:11], v[10:11], v[14:15] neg_lo:[0,1] neg_hi:[0,1]
	v_cvt_f64_f32_e64 v[14:15], |v5|
	s_delay_alu instid0(VALU_DEP_2) | instskip(NEXT) | instid1(VALU_DEP_1)
	v_add_f32_e32 v6, v10, v11
	v_add_f32_e32 v6, v13, v6
	s_delay_alu instid0(VALU_DEP_1) | instskip(NEXT) | instid1(VALU_DEP_1)
	v_mul_f32_e32 v6, v16, v6
	v_add_f32_e32 v10, v17, v6
	s_delay_alu instid0(VALU_DEP_1) | instskip(NEXT) | instid1(VALU_DEP_1)
	v_sub_f32_e32 v11, v10, v17
	v_sub_f32_e32 v22, v6, v11
	v_frexp_exp_i32_f64_e32 v20, v[14:15]
	s_delay_alu instid0(VALU_DEP_2) | instskip(SKIP_1) | instid1(VALU_DEP_1)
	v_add_f32_e32 v11, v22, v22
	v_mul_f32_e32 v13, v10, v10
	v_fma_f32 v6, v10, v10, -v13
	s_delay_alu instid0(VALU_DEP_1) | instskip(NEXT) | instid1(VALU_DEP_1)
	v_fmac_f32_e32 v6, v10, v11
	v_add_f32_e32 v12, v13, v6
	s_delay_alu instid0(VALU_DEP_1) | instskip(NEXT) | instid1(VALU_DEP_1)
	v_sub_f32_e32 v13, v12, v13
	v_dual_sub_f32 v6, v6, v13 :: v_dual_fmaak_f32 v11, s18, v12, 0x3e91f4c4
	s_delay_alu instid0(VALU_DEP_1) | instskip(NEXT) | instid1(VALU_DEP_1)
	v_fmaak_f32 v11, v12, v11, 0x3ecccdef
	v_mul_f32_e32 v16, v12, v11
	s_delay_alu instid0(VALU_DEP_1) | instskip(NEXT) | instid1(VALU_DEP_1)
	v_fma_f32 v13, v12, v11, -v16
	v_fmac_f32_e32 v13, v6, v11
	s_delay_alu instid0(VALU_DEP_1) | instskip(NEXT) | instid1(VALU_DEP_1)
	v_add_f32_e32 v18, v16, v13
	v_sub_f32_e32 v11, v18, v16
	v_add_f32_e32 v17, 0x3f2aaaaa, v18
	s_delay_alu instid0(VALU_DEP_2) | instskip(NEXT) | instid1(VALU_DEP_2)
	v_sub_f32_e32 v11, v13, v11
	v_add_f32_e32 v13, 0xbf2aaaaa, v17
	s_delay_alu instid0(VALU_DEP_1) | instskip(NEXT) | instid1(VALU_DEP_3)
	v_sub_f32_e32 v13, v18, v13
	v_add_f32_e32 v11, 0x31739010, v11
	s_delay_alu instid0(VALU_DEP_1) | instskip(SKIP_2) | instid1(VALU_DEP_2)
	v_pk_mul_f32 v[14:15], v[10:11], v[12:13]
	v_pk_add_f32 v[18:19], v[10:11], v[12:13]
	v_subrev_co_ci_u32_e64 v11, null, 0, v20, vcc_lo
	v_dual_fma_f32 v16, v12, v10, -v14 :: v_dual_mov_b32 v15, v19
	s_delay_alu instid0(VALU_DEP_1) | instskip(NEXT) | instid1(VALU_DEP_1)
	v_fmac_f32_e32 v16, v12, v22
	v_fmac_f32_e32 v16, v6, v10
	s_delay_alu instid0(VALU_DEP_1) | instskip(NEXT) | instid1(VALU_DEP_1)
	v_pk_add_f32 v[12:13], v[14:15], v[16:17]
	v_mov_b32_e32 v6, v13
	v_sub_f32_e32 v15, v17, v13
	s_delay_alu instid0(VALU_DEP_2) | instskip(SKIP_1) | instid1(VALU_DEP_3)
	v_pk_mul_f32 v[20:21], v[12:13], v[6:7]
	v_cvt_f32_i32_e32 v6, v11
	v_dual_sub_f32 v11, v12, v14 :: v_dual_add_f32 v15, v19, v15
	s_delay_alu instid0(VALU_DEP_3) | instskip(NEXT) | instid1(VALU_DEP_2)
	v_fma_f32 v14, v12, v13, -v20
	v_dual_mul_f32 v18, 0x3f317218, v6 :: v_dual_sub_f32 v11, v16, v11
	s_delay_alu instid0(VALU_DEP_2) | instskip(NEXT) | instid1(VALU_DEP_2)
	v_fmac_f32_e32 v14, v12, v15
	v_fma_f32 v12, 0x3f317218, v6, -v18
	s_delay_alu instid0(VALU_DEP_2) | instskip(SKIP_1) | instid1(VALU_DEP_2)
	v_fmac_f32_e32 v14, v11, v13
	v_ldexp_f32 v13, v10, 1
	v_add_f32_e32 v19, v20, v14
	s_delay_alu instid0(VALU_DEP_2) | instskip(SKIP_1) | instid1(VALU_DEP_3)
	v_dual_fmac_f32 v12, 0xb102e308, v6 :: v_dual_mov_b32 v21, v13
	v_ldexp_f32 v6, v22, 1
	v_mov_b32_e32 v15, v19
	s_delay_alu instid0(VALU_DEP_3) | instskip(NEXT) | instid1(VALU_DEP_1)
	v_pk_add_f32 v[10:11], v[18:19], v[12:13]
	v_dual_mov_b32 v16, v19 :: v_dual_mov_b32 v17, v11
	s_delay_alu instid0(VALU_DEP_2) | instskip(NEXT) | instid1(VALU_DEP_2)
	v_mov_b32_e32 v13, v10
	v_pk_add_f32 v[16:17], v[16:17], v[20:21] neg_lo:[0,1] neg_hi:[0,1]
	s_delay_alu instid0(VALU_DEP_1) | instskip(NEXT) | instid1(VALU_DEP_1)
	v_pk_add_f32 v[14:15], v[14:15], v[16:17] neg_lo:[0,1] neg_hi:[0,1]
	v_add_f32_e32 v6, v6, v14
	s_delay_alu instid0(VALU_DEP_1) | instskip(NEXT) | instid1(VALU_DEP_1)
	v_add_f32_e32 v19, v6, v15
	v_pk_add_f32 v[14:15], v[10:11], v[18:19]
	v_pk_add_f32 v[16:17], v[10:11], v[18:19] neg_lo:[0,1] neg_hi:[0,1]
	s_delay_alu instid0(VALU_DEP_2) | instskip(NEXT) | instid1(VALU_DEP_1)
	v_dual_mov_b32 v24, v11 :: v_dual_mov_b32 v17, v15
	v_pk_add_f32 v[20:21], v[12:13], v[16:17]
	s_delay_alu instid0(VALU_DEP_1) | instskip(SKIP_1) | instid1(VALU_DEP_2)
	v_dual_mov_b32 v20, v15 :: v_dual_mov_b32 v6, v21
	v_pk_add_f32 v[12:13], v[12:13], v[16:17] neg_lo:[0,1] neg_hi:[0,1]
	v_pk_add_f32 v[22:23], v[6:7], v[10:11] neg_lo:[0,1] neg_hi:[0,1]
	v_dual_mov_b32 v11, v10 :: v_dual_mov_b32 v10, v19
	s_delay_alu instid0(VALU_DEP_2) | instskip(NEXT) | instid1(VALU_DEP_1)
	v_dual_mov_b32 v19, v22 :: v_dual_mov_b32 v25, v22
	v_pk_add_f32 v[14:15], v[14:15], v[18:19] neg_lo:[0,1] neg_hi:[0,1]
	s_delay_alu instid0(VALU_DEP_2) | instskip(SKIP_1) | instid1(VALU_DEP_2)
	v_pk_add_f32 v[16:17], v[20:21], v[24:25] neg_lo:[0,1] neg_hi:[0,1]
	v_mov_b32_e32 v14, v12
	v_pk_add_f32 v[10:11], v[10:11], v[16:17] neg_lo:[0,1] neg_hi:[0,1]
	s_delay_alu instid0(VALU_DEP_1) | instskip(NEXT) | instid1(VALU_DEP_1)
	v_pk_add_f32 v[14:15], v[14:15], v[10:11]
	v_mov_b32_e32 v16, v15
	s_delay_alu instid0(VALU_DEP_1) | instskip(NEXT) | instid1(VALU_DEP_1)
	v_pk_add_f32 v[16:17], v[14:15], v[16:17]
	v_pk_add_f32 v[18:19], v[6:7], v[16:17]
	s_delay_alu instid0(VALU_DEP_1) | instskip(NEXT) | instid1(VALU_DEP_1)
	v_dual_mov_b32 v13, v21 :: v_dual_mov_b32 v15, v18
	v_pk_add_f32 v[20:21], v[14:15], v[12:13] neg_lo:[0,1] neg_hi:[0,1]
	s_delay_alu instid0(VALU_DEP_1) | instskip(NEXT) | instid1(VALU_DEP_1)
	v_dual_mov_b32 v11, v16 :: v_dual_sub_f32 v6, v14, v20
	v_pk_add_f32 v[10:11], v[10:11], v[20:21] neg_lo:[0,1] neg_hi:[0,1]
	s_delay_alu instid0(VALU_DEP_2) | instskip(NEXT) | instid1(VALU_DEP_1)
	v_sub_f32_e32 v6, v12, v6
	v_add_f32_e32 v6, v10, v6
	s_delay_alu instid0(VALU_DEP_1) | instskip(NEXT) | instid1(VALU_DEP_1)
	v_add_f32_e32 v6, v6, v11
	v_add_f32_e32 v10, v18, v6
	s_delay_alu instid0(VALU_DEP_1) | instskip(SKIP_1) | instid1(VALU_DEP_2)
	v_sub_f32_e32 v11, v10, v18
	v_mul_f32_e32 v12, v26, v10
	v_sub_f32_e32 v6, v6, v11
	s_delay_alu instid0(VALU_DEP_2) | instskip(SKIP_1) | instid1(VALU_DEP_2)
	v_fma_f32 v10, v26, v10, -v12
	v_cmp_class_f32_e64 vcc_lo, v12, 0x204
	v_fmac_f32_e32 v10, v26, v6
	s_delay_alu instid0(VALU_DEP_1) | instskip(NEXT) | instid1(VALU_DEP_1)
	v_add_f32_e32 v6, v12, v10
	v_dual_cndmask_b32 v11, v6, v12 :: v_dual_sub_f32 v6, v6, v12
	s_delay_alu instid0(VALU_DEP_1) | instskip(NEXT) | instid1(VALU_DEP_2)
	v_cmp_eq_f32_e32 vcc_lo, 0x42b17218, v11
	v_sub_f32_e32 v6, v10, v6
	v_cndmask_b32_e64 v13, 0, 0x37000000, vcc_lo
	s_delay_alu instid0(VALU_DEP_1) | instskip(NEXT) | instid1(VALU_DEP_1)
	v_sub_f32_e32 v14, v11, v13
	v_mul_f32_e32 v15, 0x3fb8aa3b, v14
	s_delay_alu instid0(VALU_DEP_1) | instskip(SKIP_1) | instid1(VALU_DEP_1)
	v_fma_f32 v16, 0x3fb8aa3b, v14, -v15
	v_rndne_f32_e32 v17, v15
	v_dual_fmac_f32 v16, 0x32a5705f, v14 :: v_dual_sub_f32 v15, v15, v17
	v_cmp_neq_f32_e64 vcc_lo, 0x7f800000, |v11|
	v_trunc_f32_e32 v11, v26
	s_delay_alu instid0(VALU_DEP_3) | instskip(SKIP_1) | instid1(VALU_DEP_2)
	v_dual_add_f32 v15, v15, v16 :: v_dual_cndmask_b32 v6, 0, v6
	v_cmp_ngt_f32_e32 vcc_lo, 0xc2ce8ed0, v14
	v_exp_f32_e32 v12, v15
	v_nop
	v_cvt_i32_f32_e32 v15, v17
	v_add_f32_e32 v6, v13, v6
	s_delay_alu instid0(TRANS32_DEP_1) | instid1(VALU_DEP_2)
	v_ldexp_f32 v10, v12, v15
	v_mul_f32_e32 v12, 0.5, v26
	s_delay_alu instid0(VALU_DEP_2) | instskip(SKIP_1) | instid1(VALU_DEP_3)
	v_cndmask_b32_e32 v10, 0, v10, vcc_lo
	v_cmp_nlt_f32_e32 vcc_lo, 0x42b17218, v14
	v_trunc_f32_e32 v15, v12
	s_delay_alu instid0(VALU_DEP_3) | instskip(SKIP_1) | instid1(VALU_DEP_3)
	v_cndmask_b32_e32 v10, 0x7f800000, v10, vcc_lo
	v_cmp_eq_f32_e32 vcc_lo, v11, v26
	v_cmp_neq_f32_e64 s2, v15, v12
	s_delay_alu instid0(VALU_DEP_3) | instskip(SKIP_2) | instid1(SALU_CYCLE_1)
	v_fma_f32 v6, v10, v6, v10
	v_cmp_class_f32_e64 s3, v10, 0x204
	s_and_b32 s2, vcc_lo, s2
	v_dual_cndmask_b32 v11, 1.0, v5, s2 :: v_dual_cndmask_b32 v12, 0, v5, s2
	v_cndmask_b32_e64 v6, v6, v10, s3
	v_cmp_eq_f32_e64 s3, 0, v5
	v_cmp_class_f32_e64 s2, v5, 0x204
	s_delay_alu instid0(VALU_DEP_3) | instskip(NEXT) | instid1(VALU_DEP_3)
	v_bfi_b32 v6, 0x7fffffff, v6, v11
	v_cndmask_b32_e64 v10, 0x7f800000, 0, s3
	s_delay_alu instid0(VALU_DEP_2) | instskip(SKIP_1) | instid1(VALU_DEP_3)
	v_cndmask_b32_e32 v11, 0x7fc00000, v6, vcc_lo
	v_cmp_gt_f32_e32 vcc_lo, 0, v5
	v_bfi_b32 v10, 0x7fffffff, v10, v12
	s_delay_alu instid0(VALU_DEP_3) | instskip(SKIP_1) | instid1(VALU_DEP_1)
	v_cndmask_b32_e32 v6, v6, v11, vcc_lo
	s_or_b32 vcc_lo, s3, s2
	v_cndmask_b32_e32 v6, v6, v10, vcc_lo
	v_cmp_o_f32_e32 vcc_lo, v5, v5
	s_delay_alu instid0(VALU_DEP_2) | instskip(NEXT) | instid1(VALU_DEP_1)
	v_cndmask_b32_e32 v5, 0x7fc00000, v6, vcc_lo
	v_mul_f32_e32 v4, v5, v4
.LBB0_17:                               ;   in Loop: Header=BB0_13 Depth=2
	s_and_not1_b32 vcc_lo, exec_lo, s15
	s_cbranch_vccnz .LBB0_31
; %bb.18:                               ;   in Loop: Header=BB0_13 Depth=2
	s_delay_alu instid0(VALU_DEP_1)
	v_mov_b32_e32 v5, v4
	s_mul_i32 s24, s23, s17
	s_mov_b32 s25, 0
	v_mov_b32_e32 v6, 1.0
	s_and_not1_b32 vcc_lo, exec_lo, s16
	s_sub_co_i32 s26, s5, s25
	s_cbranch_vccnz .LBB0_25
.LBB0_19:                               ;   in Loop: Header=BB0_13 Depth=2
	s_mov_b32 s2, s26
	s_mov_b32 s3, s25
	;; [unrolled: 1-line block ×3, first 2 shown]
	s_delay_alu instid0(SALU_CYCLE_1) | instskip(SKIP_1) | instid1(SALU_CYCLE_2)
	s_cvt_f32_u32 s28, s27
	s_cmp_lt_i32 s3, 2
	v_mul_f32_e32 v6, s28, v6
	s_cbranch_scc0 .LBB0_22
.LBB0_20:                               ;   in Loop: Header=BB0_13 Depth=2
	s_cmp_lt_i32 s2, 2
	s_cbranch_scc0 .LBB0_23
.LBB0_21:                               ;   in Loop: Header=BB0_13 Depth=2
	s_add_co_i32 s28, s27, -1
	s_cmp_gt_u32 s27, 1
	s_cbranch_scc1 .LBB0_24
	s_branch .LBB0_25
.LBB0_22:                               ;   in Loop: Header=BB0_13 Depth=2
	s_cvt_f32_u32 s28, s3
	s_add_co_i32 s3, s3, -1
	s_delay_alu instid0(VALU_DEP_1) | instid1(SALU_CYCLE_2)
	v_div_scale_f32 v10, null, s28, s28, v6
	s_delay_alu instid0(VALU_DEP_1)
	v_rcp_f32_e32 v11, v10
	v_nop
	v_xor_b32_e32 v10, 0x80000000, v10
	s_delay_alu instid0(TRANS32_DEP_1) | instid1(VALU_DEP_1)
	v_fma_f32 v12, v10, v11, 1.0
	s_delay_alu instid0(VALU_DEP_1) | instskip(SKIP_1) | instid1(VALU_DEP_1)
	v_fmac_f32_e32 v11, v12, v11
	v_div_scale_f32 v12, vcc_lo, v6, s28, v6
	v_mul_f32_e32 v13, v12, v11
	s_delay_alu instid0(VALU_DEP_1) | instskip(NEXT) | instid1(VALU_DEP_1)
	v_fma_f32 v14, v10, v13, v12
	v_fmac_f32_e32 v13, v14, v11
	s_delay_alu instid0(VALU_DEP_1) | instskip(NEXT) | instid1(VALU_DEP_1)
	v_fmac_f32_e32 v12, v10, v13
	v_div_fmas_f32 v10, v12, v11, v13
	s_delay_alu instid0(VALU_DEP_1)
	v_div_fixup_f32 v6, v10, s28, v6
	s_cmp_lt_i32 s2, 2
	s_cbranch_scc1 .LBB0_21
.LBB0_23:                               ;   in Loop: Header=BB0_13 Depth=2
	s_cvt_f32_u32 s28, s2
	s_add_co_i32 s2, s2, -1
	s_delay_alu instid0(SALU_CYCLE_2) | instskip(NEXT) | instid1(VALU_DEP_1)
	v_div_scale_f32 v10, null, s28, s28, v6
	v_rcp_f32_e32 v11, v10
	v_nop
	v_xor_b32_e32 v10, 0x80000000, v10
	s_delay_alu instid0(TRANS32_DEP_1) | instid1(VALU_DEP_1)
	v_fma_f32 v12, v10, v11, 1.0
	s_delay_alu instid0(VALU_DEP_1) | instskip(SKIP_1) | instid1(VALU_DEP_1)
	v_fmac_f32_e32 v11, v12, v11
	v_div_scale_f32 v12, vcc_lo, v6, s28, v6
	v_mul_f32_e32 v13, v12, v11
	s_delay_alu instid0(VALU_DEP_1) | instskip(NEXT) | instid1(VALU_DEP_1)
	v_fma_f32 v14, v10, v13, v12
	v_fmac_f32_e32 v13, v14, v11
	s_delay_alu instid0(VALU_DEP_1) | instskip(NEXT) | instid1(VALU_DEP_1)
	v_fmac_f32_e32 v12, v10, v13
	v_div_fmas_f32 v10, v12, v11, v13
	s_delay_alu instid0(VALU_DEP_1)
	v_div_fixup_f32 v6, v10, s28, v6
	s_add_co_i32 s28, s27, -1
	s_cmp_gt_u32 s27, 1
	s_cbranch_scc0 .LBB0_25
.LBB0_24:                               ;   in Loop: Header=BB0_13 Depth=2
	s_mov_b32 s27, s28
	s_delay_alu instid0(SALU_CYCLE_1) | instskip(SKIP_1) | instid1(SALU_CYCLE_2)
	s_cvt_f32_u32 s28, s27
	s_cmp_lt_i32 s3, 2
	v_mul_f32_e32 v6, s28, v6
	s_cbranch_scc0 .LBB0_22
	s_branch .LBB0_20
.LBB0_25:                               ;   Parent Loop BB0_5 Depth=1
                                        ;     Parent Loop BB0_13 Depth=2
                                        ; =>    This Inner Loop Header: Depth=3
	s_cmp_eq_u32 s25, 0
	s_cbranch_scc1 .LBB0_27
; %bb.26:                               ;   in Loop: Header=BB0_25 Depth=3
	s_cvt_f32_u32 s2, s25
	s_and_b32 s3, s21, exec_lo
	s_delay_alu instid0(SALU_CYCLE_2) | instskip(NEXT) | instid1(SALU_CYCLE_1)
	s_cselect_b32 s2, 1.0, s2
	s_cmp_neq_f32 s2, 0
	s_cselect_b32 vcc_lo, -1, 0
	v_cndmask_b32_e32 v10, 1.0, v9, vcc_lo
	s_delay_alu instid0(VALU_DEP_1) | instskip(NEXT) | instid1(VALU_DEP_1)
	v_cvt_f64_f32_e64 v[12:13], |v10|
	v_frexp_exp_i32_f64_e32 v11, v[12:13]
	v_frexp_mant_f32_e64 v12, |v10|
	s_delay_alu instid0(VALU_DEP_1) | instskip(SKIP_2) | instid1(SALU_CYCLE_1)
	v_readfirstlane_b32 s3, v12
	s_cmp_lt_f32 s3, 0x3f2aaaab
	s_cselect_b32 vcc_lo, -1, 0
	s_and_b32 s27, vcc_lo, exec_lo
	s_cselect_b32 s27, 2.0, 1.0
	s_delay_alu instid0(SALU_CYCLE_1) | instskip(NEXT) | instid1(SALU_CYCLE_3)
	s_mul_f32 s3, s3, s27
	s_add_f32 s27, s3, 1.0
	s_add_f32 s29, s3, -1.0
	s_delay_alu instid0(SALU_CYCLE_2) | instskip(SKIP_1) | instid1(SALU_CYCLE_1)
	v_s_rcp_f32 s28, s27
	s_add_f32 s33, s27, -1.0
	v_mov_b32_e32 v13, s29
	v_subrev_co_ci_u32_e64 v11, null, 0, v11, vcc_lo
	s_delay_alu instid0(SALU_CYCLE_1) | instskip(NEXT) | instid1(TRANS32_DEP_1)
	s_sub_f32 s3, s3, s33
	s_mul_f32 s30, s29, s28
	v_cvt_f32_i32_e32 v11, v11
	s_delay_alu instid0(SALU_CYCLE_2) | instskip(NEXT) | instid1(SALU_CYCLE_3)
	s_mul_f32 s31, s27, s30
	s_xor_b32 s34, s31, 0x80000000
	s_delay_alu instid0(SALU_CYCLE_1) | instskip(NEXT) | instid1(SALU_CYCLE_3)
	s_fmac_f32 s34, s30, s27
	s_fmac_f32 s34, s30, s3
	s_delay_alu instid0(SALU_CYCLE_3) | instskip(SKIP_1) | instid1(SALU_CYCLE_2)
	s_add_f32 s3, s31, s34
	v_dual_mov_b32 v14, s31 :: v_dual_mov_b32 v16, s34
	s_sub_f32 s27, s29, s3
	v_dual_mov_b32 v12, s3 :: v_dual_mov_b32 v17, s3
	s_delay_alu instid0(SALU_CYCLE_2) | instskip(NEXT) | instid1(VALU_DEP_1)
	v_mov_b32_e32 v15, s27
	v_pk_add_f32 v[12:13], v[12:13], v[14:15] neg_lo:[0,1] neg_hi:[0,1]
	s_delay_alu instid0(VALU_DEP_1) | instskip(NEXT) | instid1(VALU_DEP_1)
	v_pk_add_f32 v[12:13], v[12:13], v[16:17] neg_lo:[0,1] neg_hi:[0,1]
	v_readfirstlane_b32 s3, v13
	s_delay_alu instid0(VALU_DEP_2) | instskip(SKIP_1) | instid1(SALU_CYCLE_3)
	v_readfirstlane_b32 s29, v12
	s_add_f32 s3, s29, s3
	s_add_f32 s3, s27, s3
	s_delay_alu instid0(SALU_CYCLE_3) | instskip(NEXT) | instid1(SALU_CYCLE_3)
	s_mul_f32 s3, s28, s3
	s_add_f32 s28, s30, s3
	s_delay_alu instid0(SALU_CYCLE_3) | instskip(SKIP_1) | instid1(SALU_CYCLE_2)
	s_sub_f32 s27, s28, s30
	s_mul_f32 s29, s28, s28
	s_sub_f32 s3, s3, s27
	s_delay_alu instid0(SALU_CYCLE_2) | instskip(NEXT) | instid1(SALU_CYCLE_1)
	s_xor_b32 s27, s29, 0x80000000
	s_fmac_f32 s27, s28, s28
	s_delay_alu instid0(SALU_CYCLE_1) | instskip(NEXT) | instid1(SALU_CYCLE_3)
	s_add_f32 s30, s3, s3
	s_fmac_f32 s27, s28, s30
	s_delay_alu instid0(SALU_CYCLE_3) | instskip(NEXT) | instid1(SALU_CYCLE_3)
	s_add_f32 s30, s29, s27
	s_fmamk_f32 s31, s30, 0x3e76c4e1, s19
	s_sub_f32 s29, s30, s29
	s_delay_alu instid0(SALU_CYCLE_2) | instskip(NEXT) | instid1(SALU_CYCLE_2)
	s_fmaak_f32 s31, s30, s31, 0x3ecccdef
	s_sub_f32 s27, s27, s29
	s_delay_alu instid0(SALU_CYCLE_2) | instskip(NEXT) | instid1(SALU_CYCLE_3)
	s_mul_f32 s33, s30, s31
	s_xor_b32 s34, s33, 0x80000000
	s_delay_alu instid0(SALU_CYCLE_1) | instskip(NEXT) | instid1(SALU_CYCLE_3)
	s_fmac_f32 s34, s30, s31
	s_fmac_f32 s34, s27, s31
	s_delay_alu instid0(SALU_CYCLE_3) | instskip(NEXT) | instid1(SALU_CYCLE_3)
	s_add_f32 s31, s33, s34
	s_sub_f32 s29, s31, s33
	s_add_f32 s33, s31, 0x3f2aaaaa
	s_delay_alu instid0(SALU_CYCLE_2) | instskip(NEXT) | instid1(SALU_CYCLE_2)
	s_sub_f32 s29, s34, s29
	s_add_f32 s34, s33, 0xbf2aaaaa
	v_mov_b32_e32 v19, s33
	s_delay_alu instid0(SALU_CYCLE_1) | instskip(NEXT) | instid1(SALU_CYCLE_1)
	s_add_f32 s29, s29, 0x31739010
	s_sub_f32 s31, s31, s34
	s_delay_alu instid0(SALU_CYCLE_2) | instskip(NEXT) | instid1(SALU_CYCLE_2)
	v_mov_b64_e32 v[12:13], s[28:29]
	v_mov_b64_e32 v[14:15], s[30:31]
	s_delay_alu instid0(VALU_DEP_1) | instskip(SKIP_1) | instid1(VALU_DEP_2)
	v_pk_mul_f32 v[16:17], v[12:13], v[14:15]
	v_pk_add_f32 v[12:13], v[12:13], v[14:15]
	v_xor_b32_e32 v18, 0x80000000, v16
	s_delay_alu instid0(VALU_DEP_2) | instskip(NEXT) | instid1(VALU_DEP_2)
	v_mov_b32_e32 v17, v13
	v_fmac_f32_e64 v18, s30, s28
	s_delay_alu instid0(VALU_DEP_1) | instskip(NEXT) | instid1(VALU_DEP_1)
	v_fmac_f32_e64 v18, s30, s3
	v_fmac_f32_e64 v18, s27, s28
	s_delay_alu instid0(VALU_DEP_1) | instskip(NEXT) | instid1(VALU_DEP_1)
	v_pk_add_f32 v[14:15], v[16:17], v[18:19]
	v_dual_mov_b32 v12, v15 :: v_dual_sub_f32 v17, s33, v15
	s_delay_alu instid0(VALU_DEP_2) | instskip(NEXT) | instid1(VALU_DEP_2)
	v_dual_sub_f32 v19, v14, v16 :: v_dual_mul_f32 v22, 0x3f317218, v11
	v_pk_mul_f32 v[20:21], v[14:15], v[12:13]
	s_delay_alu instid0(VALU_DEP_2) | instskip(NEXT) | instid1(VALU_DEP_3)
	v_dual_add_f32 v13, v13, v17 :: v_dual_sub_f32 v17, v18, v19
	v_xor_b32_e32 v16, 0x80000000, v22
	s_delay_alu instid0(VALU_DEP_3) | instskip(NEXT) | instid1(VALU_DEP_2)
	v_xor_b32_e32 v12, 0x80000000, v20
	v_fmac_f32_e32 v16, 0x3f317218, v11
	s_delay_alu instid0(VALU_DEP_2) | instskip(NEXT) | instid1(VALU_DEP_2)
	v_fmac_f32_e32 v12, v14, v15
	v_fmac_f32_e32 v16, 0xb102e308, v11
	v_ldexp_f32 v11, s3, 1
	s_delay_alu instid0(VALU_DEP_3) | instskip(NEXT) | instid1(VALU_DEP_1)
	v_fmac_f32_e32 v12, v14, v13
	v_fmac_f32_e32 v12, v17, v15
	v_ldexp_f32 v17, s28, 1
	s_delay_alu instid0(VALU_DEP_1) | instskip(NEXT) | instid1(VALU_DEP_1)
	v_dual_add_f32 v23, v20, v12 :: v_dual_mov_b32 v21, v17
	v_pk_add_f32 v[14:15], v[22:23], v[16:17]
	v_dual_mov_b32 v18, v23 :: v_dual_mov_b32 v13, v23
	s_delay_alu instid0(VALU_DEP_2) | instskip(NEXT) | instid1(VALU_DEP_1)
	v_dual_mov_b32 v19, v15 :: v_dual_mov_b32 v17, v14
	v_pk_add_f32 v[18:19], v[18:19], v[20:21] neg_lo:[0,1] neg_hi:[0,1]
	s_delay_alu instid0(VALU_DEP_1) | instskip(NEXT) | instid1(VALU_DEP_1)
	v_pk_add_f32 v[12:13], v[12:13], v[18:19] neg_lo:[0,1] neg_hi:[0,1]
	v_add_f32_e32 v11, v11, v12
	s_delay_alu instid0(VALU_DEP_1) | instskip(NEXT) | instid1(VALU_DEP_1)
	v_add_f32_e32 v23, v11, v13
	v_pk_add_f32 v[12:13], v[14:15], v[22:23]
	v_pk_add_f32 v[18:19], v[14:15], v[22:23] neg_lo:[0,1] neg_hi:[0,1]
	s_delay_alu instid0(VALU_DEP_2) | instskip(SKIP_1) | instid1(VALU_DEP_1)
	v_dual_mov_b32 v24, v15 :: v_dual_mov_b32 v26, v13
	v_mov_b32_e32 v19, v13
	v_pk_add_f32 v[20:21], v[16:17], v[18:19]
	s_delay_alu instid0(VALU_DEP_1) | instskip(SKIP_1) | instid1(VALU_DEP_2)
	v_mov_b32_e32 v22, v21
	v_pk_add_f32 v[16:17], v[16:17], v[18:19] neg_lo:[0,1] neg_hi:[0,1]
	v_pk_add_f32 v[18:19], v[22:23], v[14:15] neg_lo:[0,1] neg_hi:[0,1]
	v_mov_b32_e32 v27, v21
	s_delay_alu instid0(VALU_DEP_3) | instskip(SKIP_1) | instid1(VALU_DEP_4)
	v_readfirstlane_b32 s3, v16
	v_dual_mov_b32 v15, v14 :: v_dual_mov_b32 v14, v23
	v_dual_mov_b32 v25, v18 :: v_dual_mov_b32 v11, v18
	s_delay_alu instid0(VALU_DEP_3) | instskip(NEXT) | instid1(VALU_DEP_2)
	v_mov_b32_e32 v20, s3
	v_pk_add_f32 v[16:17], v[26:27], v[24:25] neg_lo:[0,1] neg_hi:[0,1]
	s_delay_alu instid0(VALU_DEP_3) | instskip(SKIP_1) | instid1(VALU_DEP_3)
	v_pk_add_f32 v[12:13], v[12:13], v[10:11] neg_lo:[0,1] neg_hi:[0,1]
	v_mov_b32_e32 v12, s3
	v_pk_add_f32 v[14:15], v[14:15], v[16:17] neg_lo:[0,1] neg_hi:[0,1]
	s_delay_alu instid0(VALU_DEP_1) | instskip(NEXT) | instid1(VALU_DEP_1)
	v_pk_add_f32 v[12:13], v[12:13], v[14:15]
	v_mov_b32_e32 v16, v13
	s_delay_alu instid0(VALU_DEP_2) | instskip(NEXT) | instid1(VALU_DEP_2)
	v_readfirstlane_b32 s27, v12
	v_pk_add_f32 v[16:17], v[12:13], v[16:17]
	s_delay_alu instid0(VALU_DEP_1) | instskip(SKIP_1) | instid1(VALU_DEP_2)
	v_pk_add_f32 v[18:19], v[22:23], v[16:17]
	v_mov_b32_e32 v15, v16
	v_readfirstlane_b32 s28, v18
	s_delay_alu instid0(VALU_DEP_1) | instskip(NEXT) | instid1(VALU_DEP_1)
	v_dual_mov_b32 v12, s27 :: v_dual_mov_b32 v13, s28
	v_pk_add_f32 v[12:13], v[12:13], v[20:21] neg_lo:[0,1] neg_hi:[0,1]
	s_delay_alu instid0(VALU_DEP_1) | instskip(NEXT) | instid1(VALU_DEP_2)
	v_readfirstlane_b32 s29, v12
	v_pk_add_f32 v[12:13], v[14:15], v[12:13] neg_lo:[0,1] neg_hi:[0,1]
	s_sub_f32 s27, s27, s29
	s_delay_alu instid0(VALU_DEP_1) | instskip(NEXT) | instid1(SALU_CYCLE_2)
	v_readfirstlane_b32 s29, v12
	s_sub_f32 s3, s3, s27
	v_readfirstlane_b32 s27, v13
	s_delay_alu instid0(SALU_CYCLE_2) | instskip(NEXT) | instid1(SALU_CYCLE_3)
	s_add_f32 s3, s29, s3
	s_add_f32 s3, s3, s27
	s_delay_alu instid0(SALU_CYCLE_3) | instskip(NEXT) | instid1(SALU_CYCLE_3)
	s_add_f32 s27, s28, s3
	s_mul_f32 s29, s2, s27
	s_sub_f32 s28, s27, s28
	s_delay_alu instid0(SALU_CYCLE_2) | instskip(NEXT) | instid1(SALU_CYCLE_2)
	s_xor_b32 s30, s29, 0x80000000
	s_sub_f32 s3, s3, s28
	s_fmac_f32 s30, s2, s27
	s_delay_alu instid0(SALU_CYCLE_3) | instskip(SKIP_1) | instid1(SALU_CYCLE_2)
	s_fmac_f32 s30, s2, s3
	v_cmp_class_f32_e64 s3, s29, 0x204
	s_add_f32 s27, s29, s30
	s_and_b32 s3, s3, exec_lo
	s_delay_alu instid0(SALU_CYCLE_2) | instskip(SKIP_1) | instid1(SALU_CYCLE_1)
	s_sub_f32 s3, s27, s29
	s_cselect_b32 s27, s29, s27
	s_and_b32 s28, s27, 0x7fffffff
	s_delay_alu instid0(SALU_CYCLE_1) | instskip(SKIP_1) | instid1(SALU_CYCLE_2)
	s_sub_f32 s3, s30, s3
	s_cmp_neq_f32 s28, 0x7f800000
	s_cselect_b32 s3, s3, 0
	s_cmp_eq_f32 s27, 0x42b17218
	s_cselect_b32 s28, 0x37000000, 0
	s_delay_alu instid0(SALU_CYCLE_1) | instskip(NEXT) | instid1(SALU_CYCLE_3)
	s_sub_f32 s27, s27, s28
	s_mul_f32 s29, s27, 0x3fb8aa3b
	s_delay_alu instid0(SALU_CYCLE_3) | instskip(SKIP_3) | instid1(SALU_CYCLE_1)
	s_xor_b32 s30, s29, 0x80000000
	s_rndne_f32 s31, s29
	s_fmamk_f32 s30, s27, 0x3fb8aa3b, s30
	s_cmp_nlt_f32 s27, 0xc2ce8ed0
	s_sub_f32 s29, s29, s31
	s_delay_alu instid0(SALU_CYCLE_1)
	s_fmamk_f32 s30, s27, 0x32a5705f, s30
	s_cselect_b32 vcc_lo, -1, 0
	s_cmp_ngt_f32 s27, 0x42b17218
	s_trunc_f32 s27, s2
	s_add_f32 s29, s29, s30
	s_cvt_i32_f32 s30, s31
	s_delay_alu instid0(SALU_CYCLE_2)
	v_s_exp_f32 s29, s29
	v_nop
	s_delay_alu instid0(TRANS32_DEP_1) | instid1(SALU_CYCLE_1)
	v_ldexp_f32 v11, s29, s30
	s_mul_f32 s29, s2, 0.5
	s_delay_alu instid0(VALU_DEP_1) | instskip(SKIP_3) | instid1(VALU_DEP_1)
	v_cndmask_b32_e32 v11, 0, v11, vcc_lo
	s_cselect_b32 vcc_lo, -1, 0
	s_cmp_eq_f32 s27, s2
	s_trunc_f32 s2, s29
	v_cndmask_b32_e32 v11, 0x7f800000, v11, vcc_lo
	s_cselect_b32 s27, -1, 0
	s_delay_alu instid0(SALU_CYCLE_1) | instskip(SKIP_3) | instid1(SALU_CYCLE_1)
	s_cmp_neq_f32 s2, s29
	s_add_f32 s2, s28, s3
	v_cmp_eq_f32_e32 vcc_lo, 0, v10
	s_cselect_b32 s3, -1, 0
	v_fma_f32 v12, s2, v11, v11
	s_and_b32 s2, s27, s3
	v_cmp_class_f32_e64 s3, v11, 0x204
	s_delay_alu instid0(VALU_DEP_1)
	v_dual_cndmask_b32 v13, 1.0, v10, s2 :: v_dual_cndmask_b32 v11, v12, v11, s3
	v_cndmask_b32_e64 v12, 0, v10, s2
	s_and_b32 s3, vcc_lo, exec_lo
	v_cmp_class_f32_e64 s2, v10, 0x204
	s_cselect_b32 s3, 0, 0x7f800000
	v_bfi_b32 v11, 0x7fffffff, v11, v13
	v_bfi_b32 v12, 0x7fffffff, s3, v12
	s_or_b32 vcc_lo, vcc_lo, s2
	s_delay_alu instid0(VALU_DEP_1) | instskip(SKIP_1) | instid1(VALU_DEP_2)
	v_cndmask_b32_e32 v11, v11, v12, vcc_lo
	v_cmp_o_f32_e32 vcc_lo, v10, v10
	v_cndmask_b32_e32 v10, 0x7fc00000, v11, vcc_lo
	s_delay_alu instid0(VALU_DEP_1)
	v_mul_f32_e32 v6, v10, v6
.LBB0_27:                               ;   in Loop: Header=BB0_25 Depth=3
	s_cmp_lt_i32 s26, 1
	s_cbranch_scc1 .LBB0_29
; %bb.28:                               ;   in Loop: Header=BB0_25 Depth=3
	s_cvt_f32_u32 s2, s26
	s_and_b32 s3, s22, exec_lo
	s_delay_alu instid0(SALU_CYCLE_2) | instskip(NEXT) | instid1(SALU_CYCLE_1)
	s_cselect_b32 s3, 1.0, s2
	s_cmp_neq_f32 s3, 0
	s_cselect_b32 s2, s20, 1.0
	s_delay_alu instid0(SALU_CYCLE_1) | instskip(NEXT) | instid1(VALU_DEP_1)
	v_cvt_f64_f32_e64 v[10:11], |s2|
	v_frexp_exp_i32_f64_e32 v10, v[10:11]
	v_frexp_mant_f32_e64 v11, |s2|
	s_delay_alu instid0(VALU_DEP_1) | instskip(SKIP_2) | instid1(SALU_CYCLE_1)
	v_readfirstlane_b32 s26, v11
	s_cmp_lt_f32 s26, 0x3f2aaaab
	s_cselect_b32 vcc_lo, -1, 0
	s_and_b32 s27, vcc_lo, exec_lo
	s_cselect_b32 s27, 2.0, 1.0
	s_delay_alu instid0(SALU_CYCLE_1) | instskip(NEXT) | instid1(SALU_CYCLE_3)
	s_mul_f32 s26, s26, s27
	s_add_f32 s27, s26, 1.0
	s_add_f32 s29, s26, -1.0
	s_delay_alu instid0(SALU_CYCLE_2) | instskip(SKIP_2) | instid1(SALU_CYCLE_2)
	v_s_rcp_f32 s28, s27
	s_add_f32 s33, s27, -1.0
	v_subrev_co_ci_u32_e64 v20, null, 0, v10, vcc_lo
	s_sub_f32 s26, s26, s33
	s_delay_alu instid0(TRANS32_DEP_1) | instskip(NEXT) | instid1(SALU_CYCLE_3)
	s_mul_f32 s30, s29, s28
	s_mul_f32 s31, s27, s30
	s_delay_alu instid0(SALU_CYCLE_3) | instskip(SKIP_1) | instid1(SALU_CYCLE_1)
	v_dual_mov_b32 v11, s29 :: v_dual_mov_b32 v12, s31
	s_xor_b32 s34, s31, 0x80000000
	s_fmac_f32 s34, s30, s27
	s_delay_alu instid0(SALU_CYCLE_3) | instskip(NEXT) | instid1(SALU_CYCLE_3)
	s_fmac_f32 s34, s30, s26
	s_add_f32 s26, s31, s34
	s_delay_alu instid0(SALU_CYCLE_3) | instskip(SKIP_1) | instid1(SALU_CYCLE_3)
	v_dual_mov_b32 v14, s34 :: v_dual_mov_b32 v15, s26
	s_sub_f32 s27, s29, s26
	v_dual_mov_b32 v10, s26 :: v_dual_mov_b32 v13, s27
	s_delay_alu instid0(VALU_DEP_1) | instskip(NEXT) | instid1(VALU_DEP_1)
	v_pk_add_f32 v[10:11], v[10:11], v[12:13] neg_lo:[0,1] neg_hi:[0,1]
	v_pk_add_f32 v[10:11], v[10:11], v[14:15] neg_lo:[0,1] neg_hi:[0,1]
	s_delay_alu instid0(VALU_DEP_1) | instskip(NEXT) | instid1(VALU_DEP_2)
	v_readfirstlane_b32 s26, v11
	v_readfirstlane_b32 s29, v10
	s_add_f32 s26, s29, s26
	s_delay_alu instid0(SALU_CYCLE_3) | instskip(NEXT) | instid1(SALU_CYCLE_3)
	s_add_f32 s26, s27, s26
	s_mul_f32 s27, s28, s26
	s_delay_alu instid0(SALU_CYCLE_3) | instskip(NEXT) | instid1(SALU_CYCLE_3)
	s_add_f32 s26, s30, s27
	s_sub_f32 s28, s26, s30
	s_mul_f32 s29, s26, s26
	s_delay_alu instid0(SALU_CYCLE_2) | instskip(NEXT) | instid1(SALU_CYCLE_2)
	s_sub_f32 s30, s27, s28
	s_xor_b32 s27, s29, 0x80000000
	s_delay_alu instid0(SALU_CYCLE_1) | instskip(NEXT) | instid1(SALU_CYCLE_1)
	s_fmac_f32 s27, s26, s26
	s_add_f32 s28, s30, s30
	s_delay_alu instid0(SALU_CYCLE_3) | instskip(NEXT) | instid1(SALU_CYCLE_3)
	s_fmac_f32 s27, s26, s28
	s_add_f32 s28, s29, s27
	s_delay_alu instid0(SALU_CYCLE_3) | instskip(SKIP_1) | instid1(SALU_CYCLE_2)
	s_fmamk_f32 s31, s28, 0x3e76c4e1, s19
	s_sub_f32 s29, s28, s29
	s_fmaak_f32 s31, s28, s31, 0x3ecccdef
	s_delay_alu instid0(SALU_CYCLE_2) | instskip(NEXT) | instid1(SALU_CYCLE_2)
	s_sub_f32 s35, s27, s29
	s_mul_f32 s33, s28, s31
	s_delay_alu instid0(SALU_CYCLE_3) | instskip(NEXT) | instid1(SALU_CYCLE_1)
	s_xor_b32 s34, s33, 0x80000000
	s_fmac_f32 s34, s28, s31
	s_delay_alu instid0(SALU_CYCLE_3) | instskip(NEXT) | instid1(SALU_CYCLE_3)
	s_fmac_f32 s34, s35, s31
	s_add_f32 s29, s33, s34
	s_delay_alu instid0(SALU_CYCLE_3) | instskip(SKIP_1) | instid1(SALU_CYCLE_2)
	s_sub_f32 s27, s29, s33
	s_add_f32 s31, s29, 0x3f2aaaaa
	s_sub_f32 s27, s34, s27
	s_delay_alu instid0(SALU_CYCLE_2) | instskip(NEXT) | instid1(SALU_CYCLE_2)
	s_add_f32 s33, s31, 0xbf2aaaaa
	s_add_f32 s27, s27, 0x31739010
	s_delay_alu instid0(SALU_CYCLE_2) | instskip(NEXT) | instid1(SALU_CYCLE_2)
	s_sub_f32 s29, s29, s33
	v_mov_b64_e32 v[10:11], s[26:27]
	s_delay_alu instid0(SALU_CYCLE_2) | instskip(NEXT) | instid1(VALU_DEP_1)
	v_mov_b64_e32 v[12:13], s[28:29]
	v_pk_mul_f32 v[14:15], v[10:11], v[12:13]
	v_pk_add_f32 v[10:11], v[10:11], v[12:13]
	v_mov_b32_e32 v17, s31
	s_delay_alu instid0(VALU_DEP_3) | instskip(NEXT) | instid1(VALU_DEP_3)
	v_xor_b32_e32 v16, 0x80000000, v14
	v_mov_b32_e32 v15, v11
	s_delay_alu instid0(VALU_DEP_2) | instskip(NEXT) | instid1(VALU_DEP_1)
	v_fmac_f32_e64 v16, s28, s26
	v_fmac_f32_e64 v16, s28, s30
	s_delay_alu instid0(VALU_DEP_1) | instskip(NEXT) | instid1(VALU_DEP_1)
	v_fmac_f32_e64 v16, s35, s26
	v_pk_add_f32 v[12:13], v[14:15], v[16:17]
	v_cvt_f32_i32_e32 v15, v20
	s_delay_alu instid0(VALU_DEP_2) | instskip(NEXT) | instid1(VALU_DEP_2)
	v_dual_mov_b32 v10, v13 :: v_dual_sub_f32 v17, s31, v13
	v_mul_f32_e32 v20, 0x3f317218, v15
	s_delay_alu instid0(VALU_DEP_2) | instskip(SKIP_1) | instid1(VALU_DEP_3)
	v_pk_mul_f32 v[18:19], v[12:13], v[10:11]
	v_sub_f32_e32 v19, v12, v14
	v_xor_b32_e32 v14, 0x80000000, v20
	v_add_f32_e32 v11, v11, v17
	s_delay_alu instid0(VALU_DEP_4) | instskip(NEXT) | instid1(VALU_DEP_4)
	v_xor_b32_e32 v10, 0x80000000, v18
	v_sub_f32_e32 v16, v16, v19
	s_delay_alu instid0(VALU_DEP_4) | instskip(NEXT) | instid1(VALU_DEP_1)
	v_fmac_f32_e32 v14, 0x3f317218, v15
	v_fmac_f32_e32 v14, 0xb102e308, v15
	v_ldexp_f32 v15, s26, 1
	s_delay_alu instid0(VALU_DEP_1) | instskip(NEXT) | instid1(VALU_DEP_1)
	v_dual_fmac_f32 v10, v12, v13 :: v_dual_mov_b32 v19, v15
	v_fmac_f32_e32 v10, v12, v11
	s_delay_alu instid0(VALU_DEP_1) | instskip(NEXT) | instid1(VALU_DEP_1)
	v_fmac_f32_e32 v10, v16, v13
	v_add_f32_e32 v21, v18, v10
	s_delay_alu instid0(VALU_DEP_1) | instskip(SKIP_3) | instid1(VALU_DEP_3)
	v_mov_b32_e32 v11, v21
	v_pk_add_f32 v[12:13], v[20:21], v[14:15]
	v_mov_b32_e32 v16, v21
	v_ldexp_f32 v15, s30, 1
	v_dual_mov_b32 v17, v13 :: v_dual_mov_b32 v22, v13
	s_delay_alu instid0(VALU_DEP_1) | instskip(NEXT) | instid1(VALU_DEP_1)
	v_pk_add_f32 v[16:17], v[16:17], v[18:19] neg_lo:[0,1] neg_hi:[0,1]
	v_pk_add_f32 v[10:11], v[10:11], v[16:17] neg_lo:[0,1] neg_hi:[0,1]
	s_delay_alu instid0(VALU_DEP_1) | instskip(NEXT) | instid1(VALU_DEP_1)
	v_dual_add_f32 v10, v15, v10 :: v_dual_mov_b32 v15, v12
	v_add_f32_e32 v21, v10, v11
	s_delay_alu instid0(VALU_DEP_1) | instskip(SKIP_1) | instid1(VALU_DEP_2)
	v_pk_add_f32 v[10:11], v[12:13], v[20:21]
	v_pk_add_f32 v[16:17], v[12:13], v[20:21] neg_lo:[0,1] neg_hi:[0,1]
	v_mov_b32_e32 v17, v11
	s_delay_alu instid0(VALU_DEP_1) | instskip(SKIP_1) | instid1(VALU_DEP_2)
	v_pk_add_f32 v[18:19], v[14:15], v[16:17]
	v_pk_add_f32 v[14:15], v[14:15], v[16:17] neg_lo:[0,1] neg_hi:[0,1]
	v_dual_mov_b32 v24, v11 :: v_dual_mov_b32 v25, v19
	v_mov_b32_e32 v20, v19
	s_delay_alu instid0(VALU_DEP_3) | instskip(NEXT) | instid1(VALU_DEP_2)
	v_readfirstlane_b32 s26, v14
	v_pk_add_f32 v[16:17], v[20:21], v[12:13] neg_lo:[0,1] neg_hi:[0,1]
	v_dual_mov_b32 v13, v12 :: v_dual_mov_b32 v12, v21
	s_delay_alu instid0(VALU_DEP_2) | instskip(SKIP_1) | instid1(VALU_DEP_2)
	v_dual_mov_b32 v18, s26 :: v_dual_mov_b32 v23, v16
	v_mov_b32_e32 v15, v16
	v_pk_add_f32 v[16:17], v[24:25], v[22:23] neg_lo:[0,1] neg_hi:[0,1]
	s_delay_alu instid0(VALU_DEP_2) | instskip(SKIP_1) | instid1(VALU_DEP_3)
	v_pk_add_f32 v[10:11], v[10:11], v[14:15] neg_lo:[0,1] neg_hi:[0,1]
	v_mov_b32_e32 v10, s26
	v_pk_add_f32 v[12:13], v[12:13], v[16:17] neg_lo:[0,1] neg_hi:[0,1]
	s_delay_alu instid0(VALU_DEP_1) | instskip(NEXT) | instid1(VALU_DEP_1)
	v_pk_add_f32 v[10:11], v[10:11], v[12:13]
	v_readfirstlane_b32 s27, v10
	s_delay_alu instid0(VALU_DEP_2) | instskip(NEXT) | instid1(VALU_DEP_1)
	v_mov_b32_e32 v14, v11
	v_pk_add_f32 v[14:15], v[10:11], v[14:15]
	s_delay_alu instid0(VALU_DEP_3) | instskip(NEXT) | instid1(VALU_DEP_2)
	v_mov_b32_e32 v10, s27
	v_pk_add_f32 v[16:17], v[20:21], v[14:15]
	v_mov_b32_e32 v13, v14
	s_delay_alu instid0(VALU_DEP_2) | instskip(NEXT) | instid1(VALU_DEP_1)
	v_readfirstlane_b32 s28, v16
	v_mov_b32_e32 v11, s28
	s_delay_alu instid0(VALU_DEP_1) | instskip(NEXT) | instid1(VALU_DEP_1)
	v_pk_add_f32 v[10:11], v[10:11], v[18:19] neg_lo:[0,1] neg_hi:[0,1]
	v_readfirstlane_b32 s29, v10
	s_delay_alu instid0(VALU_DEP_2) | instskip(SKIP_1) | instid1(VALU_DEP_1)
	v_pk_add_f32 v[10:11], v[12:13], v[10:11] neg_lo:[0,1] neg_hi:[0,1]
	s_sub_f32 s27, s27, s29
	v_readfirstlane_b32 s29, v10
	s_delay_alu instid0(SALU_CYCLE_2) | instskip(SKIP_1) | instid1(SALU_CYCLE_2)
	s_sub_f32 s26, s26, s27
	v_readfirstlane_b32 s27, v11
	s_add_f32 s26, s29, s26
	s_delay_alu instid0(SALU_CYCLE_3) | instskip(NEXT) | instid1(SALU_CYCLE_3)
	s_add_f32 s26, s26, s27
	s_add_f32 s27, s28, s26
	s_delay_alu instid0(SALU_CYCLE_3) | instskip(SKIP_1) | instid1(SALU_CYCLE_2)
	s_mul_f32 s29, s3, s27
	s_sub_f32 s28, s27, s28
	s_xor_b32 s30, s29, 0x80000000
	s_delay_alu instid0(SALU_CYCLE_2) | instskip(SKIP_1) | instid1(SALU_CYCLE_3)
	s_sub_f32 s26, s26, s28
	s_fmac_f32 s30, s3, s27
	s_fmac_f32 s30, s3, s26
	v_cmp_class_f32_e64 s26, s29, 0x204
	s_delay_alu instid0(SALU_CYCLE_2) | instskip(SKIP_1) | instid1(SALU_CYCLE_2)
	s_add_f32 s27, s29, s30
	s_and_b32 s26, s26, exec_lo
	s_sub_f32 s26, s27, s29
	s_cselect_b32 s27, s29, s27
	s_delay_alu instid0(SALU_CYCLE_1) | instskip(NEXT) | instid1(SALU_CYCLE_1)
	s_and_b32 s28, s27, 0x7fffffff
	s_sub_f32 s26, s30, s26
	s_cmp_neq_f32 s28, 0x7f800000
	s_delay_alu instid0(SALU_CYCLE_2) | instskip(SKIP_2) | instid1(SALU_CYCLE_1)
	s_cselect_b32 s26, s26, 0
	s_cmp_eq_f32 s27, 0x42b17218
	s_cselect_b32 s28, 0x37000000, 0
	s_sub_f32 s27, s27, s28
	s_add_f32 s26, s28, s26
	s_delay_alu instid0(SALU_CYCLE_2) | instskip(NEXT) | instid1(SALU_CYCLE_3)
	s_mul_f32 s29, s27, 0x3fb8aa3b
	s_xor_b32 s30, s29, 0x80000000
	s_rndne_f32 s31, s29
	s_fmamk_f32 s30, s27, 0x3fb8aa3b, s30
	s_cmp_nlt_f32 s27, 0xc2ce8ed0
	s_delay_alu instid0(SALU_CYCLE_1) | instskip(NEXT) | instid1(SALU_CYCLE_1)
	s_sub_f32 s29, s29, s31
	s_fmamk_f32 s30, s27, 0x32a5705f, s30
	s_cselect_b32 vcc_lo, -1, 0
	s_cmp_ngt_f32 s27, 0x42b17218
	s_trunc_f32 s27, s3
	s_add_f32 s29, s29, s30
	s_cvt_i32_f32 s30, s31
	s_delay_alu instid0(SALU_CYCLE_2)
	v_s_exp_f32 s29, s29
	v_nop
	s_delay_alu instid0(TRANS32_DEP_1) | instid1(SALU_CYCLE_1)
	v_ldexp_f32 v10, s29, s30
	s_mul_f32 s29, s3, 0.5
	s_delay_alu instid0(VALU_DEP_1) | instskip(SKIP_3) | instid1(VALU_DEP_1)
	v_cndmask_b32_e32 v10, 0, v10, vcc_lo
	s_cselect_b32 vcc_lo, -1, 0
	s_cmp_eq_f32 s27, s3
	s_trunc_f32 s30, s29
	v_cndmask_b32_e32 v10, 0x7f800000, v10, vcc_lo
	s_cselect_b32 s31, -1, 0
	s_delay_alu instid0(SALU_CYCLE_1) | instskip(NEXT) | instid1(VALU_DEP_1)
	s_cmp_neq_f32 s30, s29
	v_fma_f32 v11, s26, v10, v10
	v_cmp_class_f32_e64 vcc_lo, v10, 0x204
	s_cselect_b32 s28, -1, 0
	s_delay_alu instid0(SALU_CYCLE_1)
	s_and_b32 s26, s31, s28
	v_cndmask_b32_e32 v10, v11, v10, vcc_lo
	s_and_b32 s28, s26, exec_lo
	s_cselect_b32 s28, s2, 1.0
	s_cmp_eq_f32 s27, s3
	v_cmp_class_f32_e64 s3, s2, 0x204
	v_bfi_b32 v10, 0x7fffffff, v10, s28
	s_cselect_b32 vcc_lo, -1, 0
	s_cmp_lt_f32 s2, 0
	s_delay_alu instid0(VALU_DEP_1) | instskip(SKIP_2) | instid1(VALU_DEP_1)
	v_cndmask_b32_e32 v11, 0x7fc00000, v10, vcc_lo
	s_cselect_b32 vcc_lo, -1, 0
	s_cmp_eq_f32 s2, 0
	v_cndmask_b32_e32 v10, v10, v11, vcc_lo
	s_cselect_b32 s27, -1, 0
	s_delay_alu instid0(SALU_CYCLE_1)
	s_and_b32 s28, s27, exec_lo
	s_cselect_b32 s28, 0, 0x7f800000
	s_or_b32 vcc_lo, s27, s3
	s_and_b32 s3, s26, exec_lo
	s_cselect_b32 s3, s2, 0
	s_cmp_o_f32 s2, s2
	v_mov_b32_e32 v11, s3
	s_delay_alu instid0(VALU_DEP_1) | instskip(NEXT) | instid1(VALU_DEP_1)
	v_bfi_b32 v11, 0x7fffffff, s28, v11
	v_cndmask_b32_e32 v10, v10, v11, vcc_lo
	s_cselect_b32 vcc_lo, -1, 0
	s_delay_alu instid0(VALU_DEP_1) | instskip(NEXT) | instid1(VALU_DEP_1)
	v_cndmask_b32_e32 v10, 0x7fc00000, v10, vcc_lo
	v_mul_f32_e32 v6, v10, v6
.LBB0_29:                               ;   in Loop: Header=BB0_25 Depth=3
	s_add_co_i32 s2, s25, s24
	s_delay_alu instid0(SALU_CYCLE_1)
	v_mov_b32_e32 v10, s2
	s_add_co_i32 s2, s25, 1
	s_cmp_lg_u32 s5, s25
	s_wait_kmcnt 0x0
	global_load_b96 v[10:12], v10, s[8:9] scale_offset
	s_wait_loadcnt 0x0
	s_wait_xcnt 0x0
	v_pk_mul_f32 v[10:11], v[4:5], v[10:11]
	v_mul_f32_e32 v12, v4, v12
	s_delay_alu instid0(VALU_DEP_2) | instskip(NEXT) | instid1(VALU_DEP_2)
	v_pk_fma_f32 v[0:1], v[6:7], v[10:11], v[0:1] op_sel_hi:[0,1,1]
	v_fmac_f32_e32 v2, v6, v12
	s_cbranch_scc0 .LBB0_31
; %bb.30:                               ;   in Loop: Header=BB0_25 Depth=3
	s_mov_b32 s25, s2
	v_mov_b32_e32 v6, 1.0
	s_and_not1_b32 vcc_lo, exec_lo, s16
	s_sub_co_i32 s26, s5, s25
	s_cbranch_vccz .LBB0_19
	s_branch .LBB0_25
.LBB0_31:                               ;   in Loop: Header=BB0_13 Depth=2
	s_add_co_i32 s2, s23, 1
	s_cmp_lg_u32 s4, s23
	s_cbranch_scc0 .LBB0_4
; %bb.32:                               ;   in Loop: Header=BB0_13 Depth=2
	s_mov_b32 s23, s2
	v_mov_b32_e32 v4, 1.0
	s_and_not1_b32 vcc_lo, exec_lo, s13
	s_sub_co_i32 s24, s4, s23
	s_cbranch_vccz .LBB0_7
	s_branch .LBB0_13
.LBB0_33:
	s_endpgm
	.section	.rodata,"a",@progbits
	.p2align	6, 0x0
	.amdhsa_kernel _Z9BezierGPUPK3XYZPS_iiii
		.amdhsa_group_segment_fixed_size 0
		.amdhsa_private_segment_fixed_size 0
		.amdhsa_kernarg_size 288
		.amdhsa_user_sgpr_count 2
		.amdhsa_user_sgpr_dispatch_ptr 0
		.amdhsa_user_sgpr_queue_ptr 0
		.amdhsa_user_sgpr_kernarg_segment_ptr 1
		.amdhsa_user_sgpr_dispatch_id 0
		.amdhsa_user_sgpr_kernarg_preload_length 0
		.amdhsa_user_sgpr_kernarg_preload_offset 0
		.amdhsa_user_sgpr_private_segment_size 0
		.amdhsa_wavefront_size32 1
		.amdhsa_uses_dynamic_stack 0
		.amdhsa_enable_private_segment 0
		.amdhsa_system_sgpr_workgroup_id_x 1
		.amdhsa_system_sgpr_workgroup_id_y 0
		.amdhsa_system_sgpr_workgroup_id_z 0
		.amdhsa_system_sgpr_workgroup_info 0
		.amdhsa_system_vgpr_workitem_id 0
		.amdhsa_next_free_vgpr 28
		.amdhsa_next_free_sgpr 36
		.amdhsa_named_barrier_count 0
		.amdhsa_reserve_vcc 1
		.amdhsa_float_round_mode_32 0
		.amdhsa_float_round_mode_16_64 0
		.amdhsa_float_denorm_mode_32 3
		.amdhsa_float_denorm_mode_16_64 3
		.amdhsa_fp16_overflow 0
		.amdhsa_memory_ordered 1
		.amdhsa_forward_progress 1
		.amdhsa_inst_pref_size 53
		.amdhsa_round_robin_scheduling 0
		.amdhsa_exception_fp_ieee_invalid_op 0
		.amdhsa_exception_fp_denorm_src 0
		.amdhsa_exception_fp_ieee_div_zero 0
		.amdhsa_exception_fp_ieee_overflow 0
		.amdhsa_exception_fp_ieee_underflow 0
		.amdhsa_exception_fp_ieee_inexact 0
		.amdhsa_exception_int_div_zero 0
	.end_amdhsa_kernel
	.text
.Lfunc_end0:
	.size	_Z9BezierGPUPK3XYZPS_iiii, .Lfunc_end0-_Z9BezierGPUPK3XYZPS_iiii
                                        ; -- End function
	.set _Z9BezierGPUPK3XYZPS_iiii.num_vgpr, 28
	.set _Z9BezierGPUPK3XYZPS_iiii.num_agpr, 0
	.set _Z9BezierGPUPK3XYZPS_iiii.numbered_sgpr, 36
	.set _Z9BezierGPUPK3XYZPS_iiii.num_named_barrier, 0
	.set _Z9BezierGPUPK3XYZPS_iiii.private_seg_size, 0
	.set _Z9BezierGPUPK3XYZPS_iiii.uses_vcc, 1
	.set _Z9BezierGPUPK3XYZPS_iiii.uses_flat_scratch, 0
	.set _Z9BezierGPUPK3XYZPS_iiii.has_dyn_sized_stack, 0
	.set _Z9BezierGPUPK3XYZPS_iiii.has_recursion, 0
	.set _Z9BezierGPUPK3XYZPS_iiii.has_indirect_call, 0
	.section	.AMDGPU.csdata,"",@progbits
; Kernel info:
; codeLenInByte = 6684
; TotalNumSgprs: 38
; NumVgprs: 28
; ScratchSize: 0
; MemoryBound: 0
; FloatMode: 240
; IeeeMode: 1
; LDSByteSize: 0 bytes/workgroup (compile time only)
; SGPRBlocks: 0
; VGPRBlocks: 1
; NumSGPRsForWavesPerEU: 38
; NumVGPRsForWavesPerEU: 28
; NamedBarCnt: 0
; Occupancy: 16
; WaveLimiterHint : 0
; COMPUTE_PGM_RSRC2:SCRATCH_EN: 0
; COMPUTE_PGM_RSRC2:USER_SGPR: 2
; COMPUTE_PGM_RSRC2:TRAP_HANDLER: 0
; COMPUTE_PGM_RSRC2:TGID_X_EN: 1
; COMPUTE_PGM_RSRC2:TGID_Y_EN: 0
; COMPUTE_PGM_RSRC2:TGID_Z_EN: 0
; COMPUTE_PGM_RSRC2:TIDIG_COMP_CNT: 0
	.text
	.p2alignl 7, 3214868480
	.fill 96, 4, 3214868480
	.section	.AMDGPU.gpr_maximums,"",@progbits
	.set amdgpu.max_num_vgpr, 0
	.set amdgpu.max_num_agpr, 0
	.set amdgpu.max_num_sgpr, 0
	.text
	.type	__hip_cuid_bca3d9c40b7930a1,@object ; @__hip_cuid_bca3d9c40b7930a1
	.section	.bss,"aw",@nobits
	.globl	__hip_cuid_bca3d9c40b7930a1
__hip_cuid_bca3d9c40b7930a1:
	.byte	0                               ; 0x0
	.size	__hip_cuid_bca3d9c40b7930a1, 1

	.ident	"AMD clang version 22.0.0git (https://github.com/RadeonOpenCompute/llvm-project roc-7.2.4 26084 f58b06dce1f9c15707c5f808fd002e18c2accf7e)"
	.section	".note.GNU-stack","",@progbits
	.addrsig
	.addrsig_sym __hip_cuid_bca3d9c40b7930a1
	.amdgpu_metadata
---
amdhsa.kernels:
  - .args:
      - .address_space:  global
        .offset:         0
        .size:           8
        .value_kind:     global_buffer
      - .address_space:  global
        .offset:         8
        .size:           8
        .value_kind:     global_buffer
      - .offset:         16
        .size:           4
        .value_kind:     by_value
      - .offset:         20
        .size:           4
        .value_kind:     by_value
      - .offset:         24
        .size:           4
        .value_kind:     by_value
      - .offset:         28
        .size:           4
        .value_kind:     by_value
      - .offset:         32
        .size:           4
        .value_kind:     hidden_block_count_x
      - .offset:         36
        .size:           4
        .value_kind:     hidden_block_count_y
      - .offset:         40
        .size:           4
        .value_kind:     hidden_block_count_z
      - .offset:         44
        .size:           2
        .value_kind:     hidden_group_size_x
      - .offset:         46
        .size:           2
        .value_kind:     hidden_group_size_y
      - .offset:         48
        .size:           2
        .value_kind:     hidden_group_size_z
      - .offset:         50
        .size:           2
        .value_kind:     hidden_remainder_x
      - .offset:         52
        .size:           2
        .value_kind:     hidden_remainder_y
      - .offset:         54
        .size:           2
        .value_kind:     hidden_remainder_z
      - .offset:         72
        .size:           8
        .value_kind:     hidden_global_offset_x
      - .offset:         80
        .size:           8
        .value_kind:     hidden_global_offset_y
      - .offset:         88
        .size:           8
        .value_kind:     hidden_global_offset_z
      - .offset:         96
        .size:           2
        .value_kind:     hidden_grid_dims
    .group_segment_fixed_size: 0
    .kernarg_segment_align: 8
    .kernarg_segment_size: 288
    .language:       OpenCL C
    .language_version:
      - 2
      - 0
    .max_flat_workgroup_size: 1024
    .name:           _Z9BezierGPUPK3XYZPS_iiii
    .private_segment_fixed_size: 0
    .sgpr_count:     38
    .sgpr_spill_count: 0
    .symbol:         _Z9BezierGPUPK3XYZPS_iiii.kd
    .uniform_work_group_size: 1
    .uses_dynamic_stack: false
    .vgpr_count:     28
    .vgpr_spill_count: 0
    .wavefront_size: 32
amdhsa.target:   amdgcn-amd-amdhsa--gfx1250
amdhsa.version:
  - 1
  - 2
...

	.end_amdgpu_metadata
